;; amdgpu-corpus repo=ROCm/rocFFT kind=compiled arch=gfx1201 opt=O3
	.text
	.amdgcn_target "amdgcn-amd-amdhsa--gfx1201"
	.amdhsa_code_object_version 6
	.protected	fft_rtc_back_len81_factors_3_3_3_3_wgs_243_tpt_27_dp_op_CI_CI_sbrc_xy_z_aligned ; -- Begin function fft_rtc_back_len81_factors_3_3_3_3_wgs_243_tpt_27_dp_op_CI_CI_sbrc_xy_z_aligned
	.globl	fft_rtc_back_len81_factors_3_3_3_3_wgs_243_tpt_27_dp_op_CI_CI_sbrc_xy_z_aligned
	.p2align	8
	.type	fft_rtc_back_len81_factors_3_3_3_3_wgs_243_tpt_27_dp_op_CI_CI_sbrc_xy_z_aligned,@function
fft_rtc_back_len81_factors_3_3_3_3_wgs_243_tpt_27_dp_op_CI_CI_sbrc_xy_z_aligned: ; @fft_rtc_back_len81_factors_3_3_3_3_wgs_243_tpt_27_dp_op_CI_CI_sbrc_xy_z_aligned
; %bb.0:
	s_clause 0x1
	s_load_b128 s[12:15], s[0:1], 0x10
	s_load_b64 s[26:27], s[0:1], 0x20
	s_mov_b32 s25, 0
	s_mov_b32 s24, ttmp9
	s_mov_b64 s[30:31], 0
	s_wait_kmcnt 0x0
	s_load_b128 s[20:23], s[12:13], 0x8
	s_clause 0x1
	s_load_b128 s[16:19], s[14:15], 0x0
	s_load_b64 s[28:29], s[14:15], 0x10
	s_wait_kmcnt 0x0
	s_add_co_i32 s2, s22, -1
	s_load_b64 s[22:23], s[0:1], 0x0
	s_mul_hi_u32 s2, s2, 0x38e38e39
	s_delay_alu instid0(SALU_CYCLE_1) | instskip(NEXT) | instid1(SALU_CYCLE_1)
	s_lshr_b32 s2, s2, 1
	s_add_co_i32 s2, s2, 1
	s_delay_alu instid0(SALU_CYCLE_1) | instskip(NEXT) | instid1(SALU_CYCLE_1)
	s_mul_i32 s3, s2, s20
	s_cvt_f32_u32 s2, s3
	s_sub_co_i32 s4, 0, s3
	s_delay_alu instid0(SALU_CYCLE_2) | instskip(NEXT) | instid1(TRANS32_DEP_1)
	v_rcp_iflag_f32_e32 v1, s2
	v_readfirstlane_b32 s2, v1
	v_cvt_f32_u32_e32 v1, s20
	s_delay_alu instid0(VALU_DEP_2) | instskip(SKIP_1) | instid1(SALU_CYCLE_2)
	s_mul_f32 s2, s2, 0x4f7ffffe
	s_wait_alu 0xfffe
	s_cvt_u32_f32 s2, s2
	s_wait_alu 0xfffe
	s_delay_alu instid0(SALU_CYCLE_2) | instskip(NEXT) | instid1(SALU_CYCLE_1)
	s_mul_i32 s4, s4, s2
	s_mul_hi_u32 s4, s2, s4
	s_delay_alu instid0(SALU_CYCLE_1)
	s_add_co_i32 s2, s2, s4
	s_wait_alu 0xfffe
	s_mul_hi_u32 s2, ttmp9, s2
	s_wait_alu 0xfffe
	s_mul_i32 s4, s2, s3
	s_add_co_i32 s9, s2, 1
	s_sub_co_i32 s8, ttmp9, s4
	s_clause 0x1
	s_load_b128 s[4:7], s[26:27], 0x0
	s_load_b64 s[12:13], s[26:27], 0x10
	s_sub_co_i32 s10, s8, s3
	s_cmp_ge_u32 s8, s3
	s_cselect_b32 s2, s9, s2
	s_wait_kmcnt 0x0
	s_cselect_b32 s7, s10, s8
	s_wait_alu 0xfffe
	s_add_co_i32 s8, s2, 1
	s_cmp_ge_u32 s7, s3
	s_mov_b32 s9, s25
	s_cselect_b32 s2, s8, s2
	s_wait_alu 0xfffe
	s_mul_i32 s3, s2, s3
	s_wait_alu 0xfffe
	s_sub_co_i32 s8, ttmp9, s3
	s_delay_alu instid0(SALU_CYCLE_1) | instskip(NEXT) | instid1(VALU_DEP_1)
	v_cmp_lt_u64_e64 s3, s[8:9], s[20:21]
	s_and_b32 vcc_lo, exec_lo, s3
	s_cbranch_vccnz .LBB0_2
; %bb.1:
	v_rcp_iflag_f32_e32 v2, v1
	s_sub_co_i32 s7, 0, s20
	s_delay_alu instid0(TRANS32_DEP_1) | instskip(NEXT) | instid1(VALU_DEP_1)
	v_mul_f32_e32 v2, 0x4f7ffffe, v2
	v_cvt_u32_f32_e32 v2, v2
	s_delay_alu instid0(VALU_DEP_1) | instskip(NEXT) | instid1(VALU_DEP_1)
	v_readfirstlane_b32 s3, v2
	s_mul_i32 s7, s7, s3
	s_delay_alu instid0(SALU_CYCLE_1) | instskip(NEXT) | instid1(SALU_CYCLE_1)
	s_mul_hi_u32 s7, s3, s7
	s_add_co_i32 s3, s3, s7
	s_wait_alu 0xfffe
	s_mul_hi_u32 s3, s8, s3
	s_wait_alu 0xfffe
	s_mul_i32 s7, s3, s20
	s_delay_alu instid0(SALU_CYCLE_1)
	s_sub_co_i32 s7, s8, s7
	s_add_co_i32 s8, s3, 1
	s_sub_co_i32 s9, s7, s20
	s_cmp_ge_u32 s7, s20
	s_wait_alu 0xfffe
	s_cselect_b32 s3, s8, s3
	s_cselect_b32 s7, s9, s7
	s_wait_alu 0xfffe
	s_add_co_i32 s8, s3, 1
	s_cmp_ge_u32 s7, s20
	s_wait_alu 0xfffe
	s_cselect_b32 s30, s8, s3
.LBB0_2:
	s_load_b128 s[8:11], s[0:1], 0x58
	v_cmp_lt_u64_e64 s3, s[24:25], s[20:21]
	s_delay_alu instid0(VALU_DEP_1)
	s_and_b32 vcc_lo, exec_lo, s3
	s_cbranch_vccnz .LBB0_4
; %bb.3:
	v_rcp_iflag_f32_e32 v1, v1
	s_sub_co_i32 s7, 0, s20
	s_delay_alu instid0(TRANS32_DEP_1) | instskip(NEXT) | instid1(VALU_DEP_1)
	v_mul_f32_e32 v1, 0x4f7ffffe, v1
	v_cvt_u32_f32_e32 v1, v1
	s_delay_alu instid0(VALU_DEP_1) | instskip(NEXT) | instid1(VALU_DEP_1)
	v_readfirstlane_b32 s3, v1
	s_mul_i32 s7, s7, s3
	s_delay_alu instid0(SALU_CYCLE_1) | instskip(NEXT) | instid1(SALU_CYCLE_1)
	s_mul_hi_u32 s7, s3, s7
	s_add_co_i32 s3, s3, s7
	s_wait_alu 0xfffe
	s_mul_hi_u32 s3, s24, s3
	s_wait_alu 0xfffe
	s_mul_i32 s3, s3, s20
	s_wait_alu 0xfffe
	s_sub_co_i32 s3, s24, s3
	s_wait_alu 0xfffe
	s_sub_co_i32 s7, s3, s20
	s_cmp_ge_u32 s3, s20
	s_cselect_b32 s3, s7, s3
	s_wait_alu 0xfffe
	s_sub_co_i32 s7, s3, s20
	s_cmp_ge_u32 s3, s20
	s_cselect_b32 s24, s7, s3
.LBB0_4:
	v_mul_u32_u24_e32 v1, 0x32a, v0
	s_load_b64 s[0:1], s[0:1], 0x8
	s_mul_i32 s7, s28, 3
	s_delay_alu instid0(VALU_DEP_1) | instskip(NEXT) | instid1(VALU_DEP_1)
	v_lshrrev_b32_e32 v16, 16, v1
	v_mul_lo_u16 v1, 0x51, v16
	s_delay_alu instid0(VALU_DEP_1) | instskip(NEXT) | instid1(VALU_DEP_1)
	v_sub_nc_u16 v1, v0, v1
	v_and_b32_e32 v17, 0xffff, v1
	s_wait_kmcnt 0x0
	s_lshl_b64 s[20:21], s[0:1], 3
	v_mul_lo_u32 v1, s28, v16
	s_wait_alu 0xfffe
	s_add_nc_u64 s[0:1], s[14:15], s[20:21]
	s_mov_b32 s15, 0
	s_load_b64 s[34:35], s[0:1], 0x0
	v_mad_co_u64_u32 v[3:4], null, s16, v17, 0
	s_mul_i32 s0, s30, 9
	s_mov_b32 s3, s15
	s_mul_i32 s1, s24, s18
	s_mul_i32 s13, s0, s28
	v_mul_u32_u24_e32 v16, 0x510, v16
	s_add_co_i32 s14, s1, s13
	s_delay_alu instid0(VALU_DEP_2) | instskip(SKIP_3) | instid1(VALU_DEP_1)
	v_mov_b32_e32 v2, v4
	s_lshl_b64 s[18:19], s[14:15], 4
	s_mov_b32 s1, s15
	s_mul_i32 s14, s24, s12
	v_mad_co_u64_u32 v[4:5], null, s17, v17, v[2:3]
	v_dual_mov_b32 v2, 0 :: v_dual_lshlrev_b32 v17, 4, v17
	s_lshl_b64 s[12:13], s[14:15], 4
	s_wait_kmcnt 0x0
	s_wait_alu 0xfffe
	s_mul_u64 s[16:17], s[34:35], s[2:3]
	v_lshlrev_b64_e32 v[5:6], 4, v[1:2]
	v_add_nc_u32_e32 v1, s7, v1
	s_wait_alu 0xfffe
	s_lshl_b64 s[16:17], s[16:17], 4
	v_lshlrev_b64_e32 v[3:4], 4, v[3:4]
	s_wait_alu 0xfffe
	s_add_nc_u64 s[8:9], s[8:9], s[16:17]
	v_add3_u32 v16, 0, v16, v17
	s_wait_alu 0xfffe
	s_add_nc_u64 s[8:9], s[8:9], s[18:19]
	v_lshlrev_b64_e32 v[7:8], 4, v[1:2]
	v_add_nc_u32_e32 v1, s7, v1
	s_wait_alu 0xfffe
	v_add_co_u32 v11, vcc_lo, s8, v3
	v_add_co_ci_u32_e32 v13, vcc_lo, s9, v4, vcc_lo
	s_delay_alu instid0(VALU_DEP_3) | instskip(NEXT) | instid1(VALU_DEP_3)
	v_lshlrev_b64_e32 v[3:4], 4, v[1:2]
	v_add_co_u32 v5, vcc_lo, v11, v5
	s_wait_alu 0xfffd
	s_delay_alu instid0(VALU_DEP_3)
	v_add_co_ci_u32_e32 v6, vcc_lo, v13, v6, vcc_lo
	v_add_co_u32 v9, vcc_lo, v11, v7
	s_wait_alu 0xfffd
	v_add_co_ci_u32_e32 v10, vcc_lo, v13, v8, vcc_lo
	v_add_co_u32 v12, vcc_lo, v11, v3
	s_wait_alu 0xfffd
	v_add_co_ci_u32_e32 v13, vcc_lo, v13, v4, vcc_lo
	s_clause 0x2
	global_load_b128 v[4:7], v[5:6], off
	global_load_b128 v[8:11], v[9:10], off
	;; [unrolled: 1-line block ×3, first 2 shown]
	v_mul_u32_u24_e32 v1, 0x97c, v0
	s_add_nc_u64 s[8:9], s[26:27], s[20:21]
	s_mov_b32 s16, 0xe8584caa
	s_load_b64 s[8:9], s[8:9], 0x0
	s_mov_b32 s17, 0xbfebb67a
	v_lshrrev_b32_e32 v1, 16, v1
	s_mov_b32 s19, 0x3febb67a
	s_mov_b32 s18, s16
	s_wait_loadcnt 0x2
	ds_store_b128 v16, v[4:7]
	s_wait_loadcnt 0x1
	ds_store_b128 v16, v[8:11] offset:3888
	s_wait_loadcnt 0x0
	ds_store_b128 v16, v[12:15] offset:7776
	v_add_nc_u32_e32 v3, s0, v1
	v_mul_lo_u16 v1, v1, 27
	global_wb scope:SCOPE_SE
	s_wait_dscnt 0x0
	s_wait_kmcnt 0x0
	s_barrier_signal -1
	s_barrier_wait -1
	v_mul_hi_u32 v18, 0x38e38e39, v3
	v_sub_nc_u16 v1, v0, v1
	global_inv scope:SCOPE_SE
	s_mul_u64 s[0:1], s[4:5], s[0:1]
	s_mul_u64 s[2:3], s[8:9], s[2:3]
	s_wait_alu 0xfffe
	s_lshl_b64 s[0:1], s[0:1], 4
	v_and_b32_e32 v24, 0xffff, v1
	v_and_b32_e32 v28, 0xff, v1
	v_lshrrev_b32_e32 v18, 1, v18
	s_wait_alu 0xfffe
	s_add_nc_u64 s[0:1], s[10:11], s[0:1]
	s_lshl_b64 s[2:3], s[2:3], 4
	v_lshlrev_b32_e32 v20, 4, v24
	v_lshlrev_b32_e32 v31, 5, v24
	v_lshl_add_u32 v18, v18, 3, v18
	s_wait_alu 0xfffe
	s_add_nc_u64 s[0:1], s[0:1], s[12:13]
	s_wait_alu 0xfffe
	s_add_nc_u64 s[0:1], s[0:1], s[2:3]
	v_sub_nc_u32_e32 v3, v3, v18
	s_delay_alu instid0(VALU_DEP_1) | instskip(NEXT) | instid1(VALU_DEP_1)
	v_mul_u32_u24_e32 v3, 0x51, v3
	v_lshlrev_b32_e32 v26, 4, v3
	s_delay_alu instid0(VALU_DEP_1)
	v_add3_u32 v3, 0, v20, v26
	ds_load_b128 v[4:7], v3 offset:432
	ds_load_b128 v[8:11], v3 offset:864
	v_add3_u32 v27, 0, v26, v20
	ds_load_b128 v[12:15], v27
	global_wb scope:SCOPE_SE
	s_wait_dscnt 0x0
	s_barrier_signal -1
	s_barrier_wait -1
	global_inv scope:SCOPE_SE
	v_add_f64_e32 v[16:17], v[4:5], v[8:9]
	v_add_f64_e32 v[18:19], v[6:7], v[10:11]
	v_add_f64_e64 v[22:23], v[6:7], -v[10:11]
	v_add_f64_e32 v[20:21], v[12:13], v[4:5]
	v_add_f64_e32 v[6:7], v[14:15], v[6:7]
	v_fma_f64 v[12:13], v[16:17], -0.5, v[12:13]
	v_add_f64_e64 v[16:17], v[4:5], -v[8:9]
	v_fma_f64 v[14:15], v[18:19], -0.5, v[14:15]
	v_add_f64_e32 v[4:5], v[20:21], v[8:9]
	v_add_f64_e32 v[6:7], v[6:7], v[10:11]
	v_fma_f64 v[8:9], v[22:23], s[16:17], v[12:13]
	v_fma_f64 v[12:13], v[22:23], s[18:19], v[12:13]
	;; [unrolled: 1-line block ×4, first 2 shown]
	v_mul_lo_u16 v16, 0xab, v28
	v_add_nc_u32_e32 v17, v3, v31
	ds_store_b128 v17, v[4:7]
	ds_store_b128 v17, v[8:11] offset:16
	ds_store_b128 v17, v[12:15] offset:32
	v_lshrrev_b16 v29, 9, v16
	global_wb scope:SCOPE_SE
	s_wait_dscnt 0x0
	s_barrier_signal -1
	s_barrier_wait -1
	global_inv scope:SCOPE_SE
	v_mul_lo_u16 v16, v29, 3
	s_delay_alu instid0(VALU_DEP_1) | instskip(NEXT) | instid1(VALU_DEP_1)
	v_sub_nc_u16 v16, v1, v16
	v_and_b32_e32 v30, 0xff, v16
	s_delay_alu instid0(VALU_DEP_1)
	v_lshlrev_b32_e32 v16, 5, v30
	s_clause 0x1
	global_load_b128 v[4:7], v16, s[22:23]
	global_load_b128 v[8:11], v16, s[22:23] offset:16
	ds_load_b128 v[12:15], v3 offset:432
	ds_load_b128 v[16:19], v3 offset:864
	s_wait_loadcnt_dscnt 0x101
	v_mul_f64_e32 v[20:21], v[14:15], v[6:7]
	s_wait_loadcnt_dscnt 0x0
	v_mul_f64_e32 v[22:23], v[18:19], v[10:11]
	v_mul_f64_e32 v[6:7], v[12:13], v[6:7]
	;; [unrolled: 1-line block ×3, first 2 shown]
	s_delay_alu instid0(VALU_DEP_4) | instskip(NEXT) | instid1(VALU_DEP_4)
	v_fma_f64 v[12:13], v[12:13], v[4:5], v[20:21]
	v_fma_f64 v[16:17], v[16:17], v[8:9], v[22:23]
	s_delay_alu instid0(VALU_DEP_4) | instskip(NEXT) | instid1(VALU_DEP_4)
	v_fma_f64 v[14:15], v[14:15], v[4:5], -v[6:7]
	v_fma_f64 v[8:9], v[18:19], v[8:9], -v[10:11]
	ds_load_b128 v[4:7], v27
	global_wb scope:SCOPE_SE
	s_wait_dscnt 0x0
	s_barrier_signal -1
	s_barrier_wait -1
	global_inv scope:SCOPE_SE
	v_add_f64_e32 v[20:21], v[4:5], v[12:13]
	v_add_f64_e32 v[10:11], v[12:13], v[16:17]
	v_add_f64_e64 v[24:25], v[12:13], -v[16:17]
	v_add_f64_e32 v[18:19], v[14:15], v[8:9]
	v_add_f64_e64 v[22:23], v[14:15], -v[8:9]
	v_add_f64_e32 v[14:15], v[6:7], v[14:15]
	v_fma_f64 v[10:11], v[10:11], -0.5, v[4:5]
	v_add_f64_e32 v[4:5], v[20:21], v[16:17]
	v_fma_f64 v[18:19], v[18:19], -0.5, v[6:7]
	v_mul_lo_u16 v16, v28, 57
	v_add_f64_e32 v[6:7], v[14:15], v[8:9]
	v_and_b32_e32 v17, 0xffff, v29
	s_delay_alu instid0(VALU_DEP_3) | instskip(NEXT) | instid1(VALU_DEP_1)
	v_lshrrev_b16 v28, 9, v16
	v_mul_lo_u16 v16, v28, 9
	s_delay_alu instid0(VALU_DEP_1) | instskip(NEXT) | instid1(VALU_DEP_4)
	v_sub_nc_u16 v1, v1, v16
	v_mad_u32_u24 v16, 0x90, v17, 0
	v_lshlrev_b32_e32 v17, 4, v30
	s_delay_alu instid0(VALU_DEP_3) | instskip(NEXT) | instid1(VALU_DEP_2)
	v_and_b32_e32 v1, 0xff, v1
	v_add3_u32 v16, v16, v17, v26
	v_fma_f64 v[8:9], v[22:23], s[16:17], v[10:11]
	v_fma_f64 v[12:13], v[22:23], s[18:19], v[10:11]
	;; [unrolled: 1-line block ×4, first 2 shown]
	v_lshlrev_b32_e32 v18, 5, v1
	ds_store_b128 v16, v[4:7]
	ds_store_b128 v16, v[8:11] offset:48
	ds_store_b128 v16, v[12:15] offset:96
	global_wb scope:SCOPE_SE
	s_wait_dscnt 0x0
	s_barrier_signal -1
	s_barrier_wait -1
	global_inv scope:SCOPE_SE
	s_clause 0x1
	global_load_b128 v[4:7], v18, s[22:23] offset:96
	global_load_b128 v[8:11], v18, s[22:23] offset:112
	ds_load_b128 v[12:15], v3 offset:432
	ds_load_b128 v[16:19], v3 offset:864
	v_lshlrev_b32_e32 v1, 4, v1
	s_wait_loadcnt_dscnt 0x101
	v_mul_f64_e32 v[20:21], v[14:15], v[6:7]
	s_wait_loadcnt_dscnt 0x0
	v_mul_f64_e32 v[22:23], v[18:19], v[10:11]
	v_mul_f64_e32 v[6:7], v[12:13], v[6:7]
	;; [unrolled: 1-line block ×3, first 2 shown]
	s_delay_alu instid0(VALU_DEP_4) | instskip(NEXT) | instid1(VALU_DEP_4)
	v_fma_f64 v[12:13], v[12:13], v[4:5], v[20:21]
	v_fma_f64 v[16:17], v[16:17], v[8:9], v[22:23]
	s_delay_alu instid0(VALU_DEP_4) | instskip(NEXT) | instid1(VALU_DEP_4)
	v_fma_f64 v[14:15], v[14:15], v[4:5], -v[6:7]
	v_fma_f64 v[8:9], v[18:19], v[8:9], -v[10:11]
	ds_load_b128 v[4:7], v27
	global_wb scope:SCOPE_SE
	s_wait_dscnt 0x0
	s_barrier_signal -1
	s_barrier_wait -1
	global_inv scope:SCOPE_SE
	v_add_f64_e32 v[20:21], v[4:5], v[12:13]
	v_add_f64_e32 v[10:11], v[12:13], v[16:17]
	v_add_f64_e64 v[24:25], v[12:13], -v[16:17]
	v_add_f64_e32 v[18:19], v[14:15], v[8:9]
	v_add_f64_e64 v[22:23], v[14:15], -v[8:9]
	v_add_f64_e32 v[14:15], v[6:7], v[14:15]
	v_fma_f64 v[10:11], v[10:11], -0.5, v[4:5]
	v_add_f64_e32 v[4:5], v[20:21], v[16:17]
	v_fma_f64 v[18:19], v[18:19], -0.5, v[6:7]
	v_and_b32_e32 v16, 0xffff, v28
	v_add_f64_e32 v[6:7], v[14:15], v[8:9]
	s_delay_alu instid0(VALU_DEP_2) | instskip(NEXT) | instid1(VALU_DEP_1)
	v_mad_u32_u24 v16, 0x1b0, v16, 0
	v_add3_u32 v1, v16, v1, v26
	v_fma_f64 v[8:9], v[22:23], s[16:17], v[10:11]
	v_fma_f64 v[12:13], v[22:23], s[18:19], v[10:11]
	;; [unrolled: 1-line block ×4, first 2 shown]
	ds_store_b128 v1, v[4:7]
	ds_store_b128 v1, v[8:11] offset:144
	ds_store_b128 v1, v[12:15] offset:288
	global_wb scope:SCOPE_SE
	s_wait_dscnt 0x0
	s_barrier_signal -1
	s_barrier_wait -1
	global_inv scope:SCOPE_SE
	s_clause 0x1
	global_load_b128 v[4:7], v31, s[22:23] offset:384
	global_load_b128 v[8:11], v31, s[22:23] offset:400
	ds_load_b128 v[12:15], v3 offset:432
	ds_load_b128 v[16:19], v3 offset:864
	v_mul_u32_u24_e32 v1, 0x1c72, v0
	s_delay_alu instid0(VALU_DEP_1) | instskip(NEXT) | instid1(VALU_DEP_1)
	v_lshrrev_b32_e32 v26, 16, v1
	v_mul_lo_u16 v1, v26, 9
	s_delay_alu instid0(VALU_DEP_1)
	v_sub_nc_u16 v0, v0, v1
	v_mul_lo_u32 v1, s6, v26
	s_wait_loadcnt_dscnt 0x101
	v_mul_f64_e32 v[20:21], v[14:15], v[6:7]
	s_wait_loadcnt_dscnt 0x0
	v_mul_f64_e32 v[22:23], v[18:19], v[10:11]
	v_mul_f64_e32 v[6:7], v[12:13], v[6:7]
	;; [unrolled: 1-line block ×3, first 2 shown]
	s_delay_alu instid0(VALU_DEP_4) | instskip(NEXT) | instid1(VALU_DEP_4)
	v_fma_f64 v[12:13], v[12:13], v[4:5], v[20:21]
	v_fma_f64 v[16:17], v[16:17], v[8:9], v[22:23]
	s_delay_alu instid0(VALU_DEP_4) | instskip(NEXT) | instid1(VALU_DEP_4)
	v_fma_f64 v[14:15], v[14:15], v[4:5], -v[6:7]
	v_fma_f64 v[8:9], v[18:19], v[8:9], -v[10:11]
	ds_load_b128 v[4:7], v27
	v_and_b32_e32 v27, 0xffff, v0
	v_mul_lo_u16 v0, 0x51, v0
	global_wb scope:SCOPE_SE
	s_wait_dscnt 0x0
	s_barrier_signal -1
	s_barrier_wait -1
	global_inv scope:SCOPE_SE
	v_add_f64_e32 v[20:21], v[4:5], v[12:13]
	v_add_f64_e32 v[10:11], v[12:13], v[16:17]
	v_add_f64_e64 v[24:25], v[12:13], -v[16:17]
	v_add_f64_e32 v[18:19], v[14:15], v[8:9]
	v_add_f64_e64 v[22:23], v[14:15], -v[8:9]
	v_add_f64_e32 v[14:15], v[6:7], v[14:15]
	v_fma_f64 v[10:11], v[10:11], -0.5, v[4:5]
	v_add_f64_e32 v[4:5], v[20:21], v[16:17]
	v_fma_f64 v[18:19], v[18:19], -0.5, v[6:7]
	v_mad_co_u64_u32 v[16:17], null, s4, v27, 0
	v_add_f64_e32 v[6:7], v[14:15], v[8:9]
	v_lshlrev_b32_e32 v20, 4, v26
	s_mul_i32 s4, s6, 27
	v_fma_f64 v[8:9], v[22:23], s[16:17], v[10:11]
	v_fma_f64 v[12:13], v[22:23], s[18:19], v[10:11]
	;; [unrolled: 1-line block ×4, first 2 shown]
	v_and_b32_e32 v18, 0xffff, v0
	v_mov_b32_e32 v0, v17
	ds_store_b128 v3, v[4:7]
	ds_store_b128 v3, v[8:11] offset:432
	ds_store_b128 v3, v[12:15] offset:864
	v_lshlrev_b32_e32 v21, 4, v18
	v_mad_co_u64_u32 v[17:18], null, s5, v27, v[0:1]
	v_lshlrev_b64_e32 v[18:19], 4, v[1:2]
	s_wait_alu 0xfffe
	v_add_nc_u32_e32 v1, s4, v1
	v_add3_u32 v0, 0, v21, v20
	v_add3_u32 v22, 0, v20, v21
	global_wb scope:SCOPE_SE
	s_wait_dscnt 0x0
	s_barrier_signal -1
	v_lshlrev_b64_e32 v[16:17], 4, v[16:17]
	s_barrier_wait -1
	global_inv scope:SCOPE_SE
	ds_load_b128 v[3:6], v0
	ds_load_b128 v[7:10], v22 offset:432
	ds_load_b128 v[11:14], v22 offset:864
	v_lshlrev_b64_e32 v[20:21], 4, v[1:2]
	v_add_nc_u32_e32 v1, s4, v1
	v_add_co_u32 v22, vcc_lo, s0, v16
	s_wait_alu 0xfffd
	v_add_co_ci_u32_e32 v23, vcc_lo, s1, v17, vcc_lo
	s_delay_alu instid0(VALU_DEP_3) | instskip(NEXT) | instid1(VALU_DEP_3)
	v_lshlrev_b64_e32 v[0:1], 4, v[1:2]
	v_add_co_u32 v15, vcc_lo, v22, v18
	s_wait_alu 0xfffd
	s_delay_alu instid0(VALU_DEP_3)
	v_add_co_ci_u32_e32 v16, vcc_lo, v23, v19, vcc_lo
	v_add_co_u32 v17, vcc_lo, v22, v20
	s_wait_alu 0xfffd
	v_add_co_ci_u32_e32 v18, vcc_lo, v23, v21, vcc_lo
	v_add_co_u32 v0, vcc_lo, v22, v0
	s_wait_alu 0xfffd
	v_add_co_ci_u32_e32 v1, vcc_lo, v23, v1, vcc_lo
	s_wait_dscnt 0x2
	global_store_b128 v[15:16], v[3:6], off
	s_wait_dscnt 0x1
	global_store_b128 v[17:18], v[7:10], off
	s_wait_dscnt 0x0
	global_store_b128 v[0:1], v[11:14], off
	s_nop 0
	s_sendmsg sendmsg(MSG_DEALLOC_VGPRS)
	s_endpgm
	.section	.rodata,"a",@progbits
	.p2align	6, 0x0
	.amdhsa_kernel fft_rtc_back_len81_factors_3_3_3_3_wgs_243_tpt_27_dp_op_CI_CI_sbrc_xy_z_aligned
		.amdhsa_group_segment_fixed_size 0
		.amdhsa_private_segment_fixed_size 0
		.amdhsa_kernarg_size 104
		.amdhsa_user_sgpr_count 2
		.amdhsa_user_sgpr_dispatch_ptr 0
		.amdhsa_user_sgpr_queue_ptr 0
		.amdhsa_user_sgpr_kernarg_segment_ptr 1
		.amdhsa_user_sgpr_dispatch_id 0
		.amdhsa_user_sgpr_private_segment_size 0
		.amdhsa_wavefront_size32 1
		.amdhsa_uses_dynamic_stack 0
		.amdhsa_enable_private_segment 0
		.amdhsa_system_sgpr_workgroup_id_x 1
		.amdhsa_system_sgpr_workgroup_id_y 0
		.amdhsa_system_sgpr_workgroup_id_z 0
		.amdhsa_system_sgpr_workgroup_info 0
		.amdhsa_system_vgpr_workitem_id 0
		.amdhsa_next_free_vgpr 32
		.amdhsa_next_free_sgpr 36
		.amdhsa_reserve_vcc 1
		.amdhsa_float_round_mode_32 0
		.amdhsa_float_round_mode_16_64 0
		.amdhsa_float_denorm_mode_32 3
		.amdhsa_float_denorm_mode_16_64 3
		.amdhsa_fp16_overflow 0
		.amdhsa_workgroup_processor_mode 1
		.amdhsa_memory_ordered 1
		.amdhsa_forward_progress 0
		.amdhsa_round_robin_scheduling 0
		.amdhsa_exception_fp_ieee_invalid_op 0
		.amdhsa_exception_fp_denorm_src 0
		.amdhsa_exception_fp_ieee_div_zero 0
		.amdhsa_exception_fp_ieee_overflow 0
		.amdhsa_exception_fp_ieee_underflow 0
		.amdhsa_exception_fp_ieee_inexact 0
		.amdhsa_exception_int_div_zero 0
	.end_amdhsa_kernel
	.text
.Lfunc_end0:
	.size	fft_rtc_back_len81_factors_3_3_3_3_wgs_243_tpt_27_dp_op_CI_CI_sbrc_xy_z_aligned, .Lfunc_end0-fft_rtc_back_len81_factors_3_3_3_3_wgs_243_tpt_27_dp_op_CI_CI_sbrc_xy_z_aligned
                                        ; -- End function
	.section	.AMDGPU.csdata,"",@progbits
; Kernel info:
; codeLenInByte = 2772
; NumSgprs: 38
; NumVgprs: 32
; ScratchSize: 0
; MemoryBound: 0
; FloatMode: 240
; IeeeMode: 1
; LDSByteSize: 0 bytes/workgroup (compile time only)
; SGPRBlocks: 4
; VGPRBlocks: 3
; NumSGPRsForWavesPerEU: 38
; NumVGPRsForWavesPerEU: 32
; Occupancy: 16
; WaveLimiterHint : 1
; COMPUTE_PGM_RSRC2:SCRATCH_EN: 0
; COMPUTE_PGM_RSRC2:USER_SGPR: 2
; COMPUTE_PGM_RSRC2:TRAP_HANDLER: 0
; COMPUTE_PGM_RSRC2:TGID_X_EN: 1
; COMPUTE_PGM_RSRC2:TGID_Y_EN: 0
; COMPUTE_PGM_RSRC2:TGID_Z_EN: 0
; COMPUTE_PGM_RSRC2:TIDIG_COMP_CNT: 0
	.text
	.p2alignl 7, 3214868480
	.fill 96, 4, 3214868480
	.type	__hip_cuid_2980176c73217bc0,@object ; @__hip_cuid_2980176c73217bc0
	.section	.bss,"aw",@nobits
	.globl	__hip_cuid_2980176c73217bc0
__hip_cuid_2980176c73217bc0:
	.byte	0                               ; 0x0
	.size	__hip_cuid_2980176c73217bc0, 1

	.ident	"AMD clang version 19.0.0git (https://github.com/RadeonOpenCompute/llvm-project roc-6.4.0 25133 c7fe45cf4b819c5991fe208aaa96edf142730f1d)"
	.section	".note.GNU-stack","",@progbits
	.addrsig
	.addrsig_sym __hip_cuid_2980176c73217bc0
	.amdgpu_metadata
---
amdhsa.kernels:
  - .args:
      - .actual_access:  read_only
        .address_space:  global
        .offset:         0
        .size:           8
        .value_kind:     global_buffer
      - .offset:         8
        .size:           8
        .value_kind:     by_value
      - .actual_access:  read_only
        .address_space:  global
        .offset:         16
        .size:           8
        .value_kind:     global_buffer
      - .actual_access:  read_only
        .address_space:  global
        .offset:         24
        .size:           8
        .value_kind:     global_buffer
      - .actual_access:  read_only
        .address_space:  global
        .offset:         32
        .size:           8
        .value_kind:     global_buffer
      - .offset:         40
        .size:           8
        .value_kind:     by_value
      - .actual_access:  read_only
        .address_space:  global
        .offset:         48
        .size:           8
        .value_kind:     global_buffer
      - .actual_access:  read_only
        .address_space:  global
        .offset:         56
        .size:           8
        .value_kind:     global_buffer
      - .offset:         64
        .size:           4
        .value_kind:     by_value
      - .actual_access:  read_only
        .address_space:  global
        .offset:         72
        .size:           8
        .value_kind:     global_buffer
      - .actual_access:  read_only
        .address_space:  global
        .offset:         80
        .size:           8
        .value_kind:     global_buffer
      - .actual_access:  read_only
        .address_space:  global
        .offset:         88
        .size:           8
        .value_kind:     global_buffer
      - .actual_access:  write_only
        .address_space:  global
        .offset:         96
        .size:           8
        .value_kind:     global_buffer
    .group_segment_fixed_size: 0
    .kernarg_segment_align: 8
    .kernarg_segment_size: 104
    .language:       OpenCL C
    .language_version:
      - 2
      - 0
    .max_flat_workgroup_size: 243
    .name:           fft_rtc_back_len81_factors_3_3_3_3_wgs_243_tpt_27_dp_op_CI_CI_sbrc_xy_z_aligned
    .private_segment_fixed_size: 0
    .sgpr_count:     38
    .sgpr_spill_count: 0
    .symbol:         fft_rtc_back_len81_factors_3_3_3_3_wgs_243_tpt_27_dp_op_CI_CI_sbrc_xy_z_aligned.kd
    .uniform_work_group_size: 1
    .uses_dynamic_stack: false
    .vgpr_count:     32
    .vgpr_spill_count: 0
    .wavefront_size: 32
    .workgroup_processor_mode: 1
amdhsa.target:   amdgcn-amd-amdhsa--gfx1201
amdhsa.version:
  - 1
  - 2
...

	.end_amdgpu_metadata
